;; amdgpu-corpus repo=ROCm/rocFFT kind=compiled arch=gfx906 opt=O3
	.text
	.amdgcn_target "amdgcn-amd-amdhsa--gfx906"
	.amdhsa_code_object_version 6
	.protected	bluestein_single_fwd_len70_dim1_sp_op_CI_CI ; -- Begin function bluestein_single_fwd_len70_dim1_sp_op_CI_CI
	.globl	bluestein_single_fwd_len70_dim1_sp_op_CI_CI
	.p2align	8
	.type	bluestein_single_fwd_len70_dim1_sp_op_CI_CI,@function
bluestein_single_fwd_len70_dim1_sp_op_CI_CI: ; @bluestein_single_fwd_len70_dim1_sp_op_CI_CI
; %bb.0:
	v_mul_u32_u24_e32 v1, 0x124a, v0
	s_load_dwordx4 s[12:15], s[4:5], 0x28
	v_lshrrev_b32_e32 v1, 16, v1
	v_mad_u64_u32 v[34:35], s[0:1], s6, 18, v[1:2]
	v_mov_b32_e32 v35, 0
	s_waitcnt lgkmcnt(0)
	v_cmp_gt_u64_e32 vcc, s[12:13], v[34:35]
	s_and_saveexec_b64 s[0:1], vcc
	s_cbranch_execz .LBB0_23
; %bb.1:
	s_load_dwordx4 s[0:3], s[4:5], 0x18
	s_load_dwordx2 s[12:13], s[4:5], 0x0
	v_mul_lo_u16_e32 v1, 14, v1
	v_sub_u16_e32 v46, v0, v1
	v_lshlrev_b32_e32 v48, 3, v46
	s_waitcnt lgkmcnt(0)
	s_load_dwordx4 s[8:11], s[0:1], 0x0
	global_load_dwordx2 v[41:42], v48, s[12:13]
	s_mov_b32 s6, 0x38e38e39
	v_mul_hi_u32 v10, v34, s6
	v_mov_b32_e32 v11, s13
	s_waitcnt lgkmcnt(0)
	v_mad_u64_u32 v[0:1], s[0:1], s10, v34, 0
	v_mad_u64_u32 v[2:3], s[0:1], s8, v46, 0
	v_lshrrev_b32_e32 v10, 2, v10
	v_mul_lo_u32 v10, v10, 18
	v_mad_u64_u32 v[4:5], s[0:1], s11, v34, v[1:2]
	v_sub_u32_e32 v10, v34, v10
	v_mad_u64_u32 v[5:6], s[0:1], s9, v46, v[3:4]
	v_mov_b32_e32 v1, v4
	v_lshlrev_b64 v[0:1], 3, v[0:1]
	v_mov_b32_e32 v6, s15
	v_mov_b32_e32 v3, v5
	v_add_co_u32_e32 v4, vcc, s14, v0
	v_addc_co_u32_e32 v5, vcc, v6, v1, vcc
	v_lshlrev_b64 v[0:1], 3, v[2:3]
	s_mul_i32 s0, s9, 35
	s_mul_hi_u32 s1, s8, 35
	s_add_i32 s1, s1, s0
	s_mul_i32 s0, s8, 35
	v_add_co_u32_e32 v0, vcc, v4, v0
	s_lshl_b64 s[14:15], s[0:1], 3
	s_mul_hi_u32 s1, s8, 0xffffffeb
	v_addc_co_u32_e32 v1, vcc, v5, v1, vcc
	s_mul_i32 s0, s9, 0xffffffeb
	s_sub_i32 s1, s1, s8
	global_load_dwordx2 v[2:3], v[0:1], off
	v_mov_b32_e32 v8, s15
	v_add_co_u32_e32 v0, vcc, s14, v0
	s_add_i32 s1, s1, s0
	s_mul_i32 s0, s8, 0xffffffeb
	v_addc_co_u32_e32 v1, vcc, v1, v8, vcc
	s_lshl_b64 s[0:1], s[0:1], 3
	global_load_dwordx2 v[4:5], v[0:1], off
	global_load_dwordx2 v[37:38], v48, s[12:13] offset:280
	v_mov_b32_e32 v6, s1
	v_add_co_u32_e32 v0, vcc, s0, v0
	v_addc_co_u32_e32 v1, vcc, v1, v6, vcc
	global_load_dwordx2 v[6:7], v[0:1], off
	global_load_dwordx2 v[35:36], v48, s[12:13] offset:392
	global_load_dwordx2 v[39:40], v48, s[12:13] offset:112
	v_add_co_u32_e32 v0, vcc, s14, v0
	v_addc_co_u32_e32 v1, vcc, v1, v8, vcc
	global_load_dwordx2 v[8:9], v[0:1], off
	v_add_co_u32_e32 v32, vcc, s12, v48
	v_mul_u32_u24_e32 v10, 0x46, v10
	s_load_dwordx2 s[6:7], s[4:5], 0x38
	s_load_dwordx4 s[8:11], s[2:3], 0x0
	v_addc_co_u32_e32 v33, vcc, 0, v11, vcc
	v_lshlrev_b32_e32 v47, 3, v10
	v_add_u32_e32 v45, v48, v47
	v_cmp_gt_u16_e32 vcc, 7, v46
	s_waitcnt vmcnt(6)
	v_mul_f32_e32 v10, v3, v42
	v_mul_f32_e32 v11, v2, v42
	v_fmac_f32_e32 v10, v2, v41
	v_fma_f32 v11, v3, v41, -v11
	s_waitcnt vmcnt(4)
	v_mul_f32_e32 v2, v5, v38
	v_mul_f32_e32 v3, v4, v38
	v_fmac_f32_e32 v2, v4, v37
	v_fma_f32 v3, v5, v37, -v3
	ds_write_b64 v45, v[2:3] offset:280
	s_waitcnt vmcnt(1)
	v_mul_f32_e32 v4, v7, v40
	v_mul_f32_e32 v5, v6, v40
	v_fmac_f32_e32 v4, v6, v39
	v_fma_f32 v5, v7, v39, -v5
	ds_write2_b64 v45, v[10:11], v[4:5] offset1:14
	s_waitcnt vmcnt(0)
	v_mul_f32_e32 v2, v9, v36
	v_mul_f32_e32 v3, v8, v36
	v_fmac_f32_e32 v2, v8, v35
	v_fma_f32 v3, v9, v35, -v3
	ds_write_b64 v45, v[2:3] offset:392
	s_and_saveexec_b64 s[2:3], vcc
	s_cbranch_execz .LBB0_3
; %bb.2:
	v_mov_b32_e32 v2, s1
	v_add_co_u32_e64 v0, s[0:1], s0, v0
	v_addc_co_u32_e64 v1, s[0:1], v1, v2, s[0:1]
	global_load_dwordx2 v[2:3], v[0:1], off
	global_load_dwordx2 v[4:5], v[32:33], off offset:224
	v_mov_b32_e32 v6, s15
	v_add_co_u32_e64 v0, s[0:1], s14, v0
	v_addc_co_u32_e64 v1, s[0:1], v1, v6, s[0:1]
	global_load_dwordx2 v[6:7], v[32:33], off offset:504
	global_load_dwordx2 v[8:9], v[0:1], off
	s_waitcnt vmcnt(2)
	v_mul_f32_e32 v0, v3, v5
	v_mul_f32_e32 v1, v2, v5
	v_fmac_f32_e32 v0, v2, v4
	v_fma_f32 v1, v3, v4, -v1
	s_waitcnt vmcnt(0)
	v_mul_f32_e32 v2, v9, v7
	v_mul_f32_e32 v3, v8, v7
	v_fmac_f32_e32 v2, v8, v6
	v_fma_f32 v3, v9, v6, -v3
	ds_write2_b64 v45, v[0:1], v[2:3] offset0:28 offset1:63
.LBB0_3:
	s_or_b64 exec, exec, s[2:3]
	s_load_dwordx2 s[4:5], s[4:5], 0x8
	s_waitcnt lgkmcnt(0)
	s_barrier
	ds_read2_b64 v[4:7], v45 offset1:14
	ds_read2_b64 v[8:11], v45 offset0:35 offset1:49
                                        ; implicit-def: $vgpr2
	s_and_saveexec_b64 s[0:1], vcc
	s_cbranch_execz .LBB0_5
; %bb.4:
	ds_read2_b64 v[0:3], v45 offset0:28 offset1:63
.LBB0_5:
	s_or_b64 exec, exec, s[0:1]
	v_add_co_u32_e64 v16, s[0:1], 28, v46
	s_waitcnt lgkmcnt(0)
	v_sub_f32_e32 v14, v4, v8
	v_sub_f32_e32 v15, v5, v9
	;; [unrolled: 1-line block ×5, first 2 shown]
	v_lshlrev_b16_e32 v2, 1, v46
	v_fma_f32 v12, v4, 2.0, -v14
	v_fma_f32 v13, v5, 2.0, -v15
	;; [unrolled: 1-line block ×4, first 2 shown]
	v_sub_f32_e32 v23, v1, v3
	v_lshl_add_u32 v50, v2, 3, v47
	v_lshl_add_u32 v51, v46, 4, v47
	;; [unrolled: 1-line block ×3, first 2 shown]
	s_barrier
	ds_write_b128 v50, v[12:15]
	ds_write_b128 v51, v[6:9] offset:224
	s_and_saveexec_b64 s[0:1], vcc
	s_cbranch_execz .LBB0_7
; %bb.6:
	v_fma_f32 v21, v1, 2.0, -v23
	v_fma_f32 v20, v0, 2.0, -v22
	ds_write_b128 v49, v[20:23]
.LBB0_7:
	s_or_b64 exec, exec, s[0:1]
	v_and_b32_e32 v18, 1, v46
	v_lshlrev_b32_e32 v8, 5, v18
	s_waitcnt lgkmcnt(0)
	s_barrier
	global_load_dwordx4 v[4:7], v8, s[4:5]
	global_load_dwordx4 v[0:3], v8, s[4:5] offset:16
	ds_read2_b64 v[8:11], v45 offset1:14
	ds_read2_b64 v[12:15], v45 offset0:28 offset1:42
	ds_read_b64 v[16:17], v45 offset:448
	v_lshrrev_b32_e32 v19, 1, v46
	v_cmp_gt_u16_e64 s[0:1], 10, v46
	s_waitcnt vmcnt(0) lgkmcnt(0)
	s_barrier
	v_mul_f32_e32 v21, v10, v5
	v_mul_f32_e32 v24, v13, v7
	;; [unrolled: 1-line block ×7, first 2 shown]
	v_fmac_f32_e32 v21, v11, v4
	v_fma_f32 v11, v12, v6, -v24
	v_fma_f32 v12, v14, v0, -v26
	v_mul_f32_e32 v28, v17, v3
	v_fmac_f32_e32 v27, v15, v0
	v_fmac_f32_e32 v43, v17, v2
	v_add_f32_e32 v15, v11, v12
	v_fma_f32 v10, v10, v4, -v20
	v_fmac_f32_e32 v25, v13, v6
	v_fma_f32 v13, v16, v2, -v28
	v_add_f32_e32 v26, v21, v43
	v_fma_f32 v20, -0.5, v15, v8
	v_add_f32_e32 v14, v8, v10
	v_sub_f32_e32 v16, v21, v43
	v_add_f32_e32 v17, v10, v13
	v_add_f32_e32 v24, v25, v27
	;; [unrolled: 1-line block ×3, first 2 shown]
	v_fma_f32 v31, -0.5, v26, v9
	v_mov_b32_e32 v26, v20
	v_sub_f32_e32 v44, v25, v27
	v_sub_f32_e32 v29, v10, v11
	;; [unrolled: 1-line block ×5, first 2 shown]
	v_fma_f32 v21, -0.5, v24, v9
	v_fma_f32 v30, -0.5, v17, v8
	v_add_f32_e32 v9, v14, v11
	v_add_f32_e32 v14, v28, v25
	v_fmac_f32_e32 v20, 0xbf737871, v16
	v_fmac_f32_e32 v26, 0x3f737871, v16
	v_sub_f32_e32 v53, v11, v10
	v_sub_f32_e32 v54, v12, v13
	;; [unrolled: 1-line block ×6, first 2 shown]
	v_add_f32_e32 v8, v29, v52
	v_add_f32_e32 v9, v9, v12
	;; [unrolled: 1-line block ×3, first 2 shown]
	v_mov_b32_e32 v28, v30
	v_mov_b32_e32 v27, v21
	;; [unrolled: 1-line block ×3, first 2 shown]
	v_fmac_f32_e32 v20, 0xbf167918, v44
	v_fmac_f32_e32 v26, 0x3f167918, v44
	;; [unrolled: 1-line block ×10, first 2 shown]
	v_mul_u32_u24_e32 v8, 10, v19
	v_add_f32_e32 v11, v53, v54
	v_add_f32_e32 v15, v56, v58
	;; [unrolled: 1-line block ×3, first 2 shown]
	v_fmac_f32_e32 v30, 0xbf167918, v16
	v_fmac_f32_e32 v21, 0x3f167918, v55
	;; [unrolled: 1-line block ×6, first 2 shown]
	v_or_b32_e32 v8, v8, v18
	v_add_f32_e32 v24, v9, v13
	v_add_f32_e32 v25, v12, v43
	v_fmac_f32_e32 v30, 0x3e9e377a, v11
	v_fmac_f32_e32 v21, 0x3e9e377a, v15
	;; [unrolled: 1-line block ×6, first 2 shown]
	v_lshl_add_u32 v52, v8, 3, v47
	ds_write2_b64 v52, v[24:25], v[26:27] offset1:2
	ds_write2_b64 v52, v[28:29], v[30:31] offset0:4 offset1:6
	ds_write_b64 v52, v[20:21] offset:64
	s_waitcnt lgkmcnt(0)
	s_barrier
	s_waitcnt lgkmcnt(0)
                                        ; implicit-def: $vgpr43
	s_and_saveexec_b64 s[2:3], s[0:1]
	s_cbranch_execz .LBB0_9
; %bb.8:
	ds_read2_b64 v[24:27], v45 offset1:10
	ds_read2_b64 v[28:31], v45 offset0:20 offset1:30
	ds_read2_b64 v[20:23], v45 offset0:40 offset1:50
	ds_read_b64 v[43:44], v45 offset:480
.LBB0_9:
	s_or_b64 exec, exec, s[2:3]
	v_add_u32_e32 v8, -10, v46
	v_cndmask_b32_e64 v8, v8, v46, s[0:1]
	v_mul_hi_i32_i24_e32 v9, 48, v8
	v_mul_i32_i24_e32 v8, 48, v8
	v_add_co_u32_e64 v53, s[2:3], s4, v8
	v_mov_b32_e32 v8, s5
	v_addc_co_u32_e64 v54, s[2:3], v8, v9, s[2:3]
	global_load_dwordx4 v[8:11], v[53:54], off offset:96
	global_load_dwordx4 v[16:19], v[53:54], off offset:80
	;; [unrolled: 1-line block ×3, first 2 shown]
	s_mov_b32 s2, 0x3f5ff5aa
	s_mov_b32 s3, 0x3f3bfb3b
	s_waitcnt vmcnt(0) lgkmcnt(3)
	v_mul_f32_e32 v53, v27, v13
	v_fma_f32 v53, v26, v12, -v53
	v_mul_f32_e32 v26, v26, v13
	v_fmac_f32_e32 v26, v27, v12
	s_waitcnt lgkmcnt(2)
	v_mul_f32_e32 v27, v29, v15
	v_fma_f32 v27, v28, v14, -v27
	v_mul_f32_e32 v28, v28, v15
	v_fmac_f32_e32 v28, v29, v14
	v_mul_f32_e32 v29, v31, v17
	v_fma_f32 v29, v30, v16, -v29
	v_mul_f32_e32 v30, v30, v17
	v_fmac_f32_e32 v30, v31, v16
	s_waitcnt lgkmcnt(1)
	v_mul_f32_e32 v31, v21, v19
	v_fma_f32 v31, v20, v18, -v31
	v_mul_f32_e32 v20, v20, v19
	v_fmac_f32_e32 v20, v21, v18
	;; [unrolled: 9-line block ×3, first 2 shown]
	v_add_f32_e32 v44, v53, v23
	v_add_f32_e32 v54, v26, v43
	v_sub_f32_e32 v23, v53, v23
	v_sub_f32_e32 v26, v26, v43
	v_add_f32_e32 v43, v27, v21
	v_add_f32_e32 v53, v28, v22
	v_sub_f32_e32 v21, v27, v21
	v_sub_f32_e32 v22, v28, v22
	;; [unrolled: 4-line block ×4, first 2 shown]
	v_sub_f32_e32 v53, v28, v53
	v_add_f32_e32 v57, v29, v21
	v_sub_f32_e32 v59, v29, v21
	v_sub_f32_e32 v61, v23, v29
	v_add_f32_e32 v29, v27, v30
	v_add_f32_e32 v28, v28, v31
	v_sub_f32_e32 v55, v43, v44
	v_sub_f32_e32 v44, v44, v27
	;; [unrolled: 1-line block ×3, first 2 shown]
	v_add_f32_e32 v58, v20, v22
	v_sub_f32_e32 v60, v20, v22
	v_add_f32_e32 v24, v24, v29
	v_add_f32_e32 v25, v25, v28
	v_sub_f32_e32 v20, v26, v20
	v_sub_f32_e32 v21, v21, v23
	;; [unrolled: 1-line block ×3, first 2 shown]
	v_add_f32_e32 v62, v58, v26
	v_mul_f32_e32 v30, 0x3f4a47b2, v44
	v_mul_f32_e32 v44, 0x3f4a47b2, v54
	;; [unrolled: 1-line block ×6, first 2 shown]
	v_mov_b32_e32 v59, v24
	v_mov_b32_e32 v60, v25
	v_add_f32_e32 v23, v57, v23
	v_mul_f32_e32 v57, 0x3f5ff5aa, v21
	v_mul_f32_e32 v58, 0x3f5ff5aa, v22
	v_fmac_f32_e32 v59, 0xbf955555, v29
	v_fmac_f32_e32 v60, 0xbf955555, v28
	v_fma_f32 v63, v55, s3, -v31
	v_fma_f32 v64, v56, s3, -v54
	s_mov_b32 s3, 0xbf3bfb3b
	v_fma_f32 v28, v21, s2, -v26
	v_fma_f32 v29, v22, s2, -v27
	s_mov_b32 s2, 0xbeae86e6
	v_fma_f32 v65, v55, s3, -v30
	v_fmac_f32_e32 v30, 0x3d64c772, v43
	v_fma_f32 v43, v56, s3, -v44
	v_fmac_f32_e32 v44, 0x3d64c772, v53
	v_fmac_f32_e32 v26, 0x3eae86e6, v61
	;; [unrolled: 1-line block ×3, first 2 shown]
	v_fma_f32 v31, v61, s2, -v57
	v_fma_f32 v53, v20, s2, -v58
	v_add_f32_e32 v30, v30, v59
	v_add_f32_e32 v54, v44, v60
	;; [unrolled: 1-line block ×6, first 2 shown]
	v_fmac_f32_e32 v26, 0x3ee1c552, v23
	v_fmac_f32_e32 v27, 0x3ee1c552, v62
	;; [unrolled: 1-line block ×6, first 2 shown]
	v_add_f32_e32 v20, v29, v55
	v_sub_f32_e32 v21, v57, v28
	v_sub_f32_e32 v22, v56, v53
	v_add_f32_e32 v23, v31, v58
	v_sub_f32_e32 v43, v30, v27
	v_add_f32_e32 v44, v26, v54
	s_and_saveexec_b64 s[2:3], s[0:1]
	s_cbranch_execz .LBB0_11
; %bb.10:
	v_add_f32_e32 v60, v28, v57
	v_sub_f32_e32 v59, v55, v29
	v_sub_f32_e32 v29, v58, v31
	v_add_f32_e32 v28, v53, v56
	v_sub_f32_e32 v31, v54, v26
	v_add_f32_e32 v30, v27, v30
	ds_write_b64 v45, v[24:25]
	v_lshl_add_u32 v24, v46, 3, v47
	ds_write2_b64 v24, v[30:31], v[28:29] offset0:10 offset1:20
	ds_write2_b64 v24, v[59:60], v[20:21] offset0:30 offset1:40
	;; [unrolled: 1-line block ×3, first 2 shown]
.LBB0_11:
	s_or_b64 exec, exec, s[2:3]
	s_add_u32 s2, s12, 0x230
	s_waitcnt lgkmcnt(0)
	s_barrier
	global_load_dwordx2 v[53:54], v[32:33], off offset:560
	s_addc_u32 s3, s13, 0
	global_load_dwordx2 v[55:56], v48, s[2:3] offset:280
	global_load_dwordx2 v[57:58], v48, s[2:3] offset:392
	global_load_dwordx2 v[59:60], v48, s[2:3] offset:112
	ds_read2_b64 v[24:27], v45 offset1:14
	ds_read2_b64 v[28:31], v45 offset0:35 offset1:49
	s_waitcnt vmcnt(3) lgkmcnt(1)
	v_mul_f32_e32 v61, v25, v54
	v_mul_f32_e32 v62, v24, v54
	v_fma_f32 v61, v24, v53, -v61
	v_fmac_f32_e32 v62, v25, v53
	s_waitcnt vmcnt(0)
	v_mul_f32_e32 v53, v27, v60
	v_mul_f32_e32 v54, v26, v60
	s_waitcnt lgkmcnt(0)
	v_mul_f32_e32 v24, v29, v56
	v_mul_f32_e32 v25, v28, v56
	;; [unrolled: 1-line block ×4, first 2 shown]
	v_fma_f32 v53, v26, v59, -v53
	v_fmac_f32_e32 v54, v27, v59
	v_fma_f32 v24, v28, v55, -v24
	v_fmac_f32_e32 v25, v29, v55
	v_fma_f32 v55, v30, v57, -v60
	v_fmac_f32_e32 v56, v31, v57
	ds_write2_b64 v45, v[61:62], v[53:54] offset1:14
	ds_write2_b64 v45, v[24:25], v[55:56] offset0:35 offset1:49
	s_and_saveexec_b64 s[4:5], vcc
	s_cbranch_execz .LBB0_13
; %bb.12:
	v_mov_b32_e32 v25, s3
	v_add_co_u32_e64 v24, s[2:3], s2, v48
	v_addc_co_u32_e64 v25, s[2:3], 0, v25, s[2:3]
	global_load_dwordx2 v[28:29], v[24:25], off offset:224
	global_load_dwordx2 v[30:31], v[24:25], off offset:504
	ds_read2_b64 v[24:27], v45 offset0:28 offset1:63
	s_waitcnt vmcnt(1) lgkmcnt(0)
	v_mul_f32_e32 v48, v25, v29
	v_mul_f32_e32 v54, v24, v29
	s_waitcnt vmcnt(0)
	v_mul_f32_e32 v55, v27, v31
	v_mul_f32_e32 v29, v26, v31
	v_fma_f32 v53, v24, v28, -v48
	v_fmac_f32_e32 v54, v25, v28
	v_fma_f32 v28, v26, v30, -v55
	v_fmac_f32_e32 v29, v27, v30
	ds_write2_b64 v45, v[53:54], v[28:29] offset0:28 offset1:63
.LBB0_13:
	s_or_b64 exec, exec, s[4:5]
	s_waitcnt lgkmcnt(0)
	s_barrier
	ds_read2_b64 v[24:27], v45 offset1:14
	ds_read2_b64 v[28:31], v45 offset0:35 offset1:49
	v_add_u32_e32 v48, 0xe0, v51
	s_and_saveexec_b64 s[2:3], vcc
	s_cbranch_execz .LBB0_15
; %bb.14:
	ds_read2_b64 v[20:23], v45 offset0:28 offset1:63
.LBB0_15:
	s_or_b64 exec, exec, s[2:3]
	s_waitcnt lgkmcnt(0)
	v_sub_f32_e32 v55, v24, v28
	v_sub_f32_e32 v56, v25, v29
	v_fma_f32 v53, v24, 2.0, -v55
	v_fma_f32 v54, v25, 2.0, -v56
	v_sub_f32_e32 v28, v26, v30
	v_sub_f32_e32 v29, v27, v31
	v_sub_f32_e32 v22, v20, v22
	v_sub_f32_e32 v23, v21, v23
	v_fma_f32 v26, v26, 2.0, -v28
	v_fma_f32 v27, v27, 2.0, -v29
	s_barrier
	ds_write_b128 v50, v[53:56]
	ds_write_b128 v48, v[26:29]
	s_and_saveexec_b64 s[2:3], vcc
	s_cbranch_execz .LBB0_17
; %bb.16:
	v_fma_f32 v21, v21, 2.0, -v23
	v_fma_f32 v20, v20, 2.0, -v22
	ds_write_b128 v49, v[20:23]
.LBB0_17:
	s_or_b64 exec, exec, s[2:3]
	s_waitcnt lgkmcnt(0)
	s_barrier
	ds_read2_b64 v[24:27], v45 offset1:14
	ds_read2_b64 v[28:31], v45 offset0:28 offset1:42
	ds_read_b64 v[20:21], v45 offset:448
	s_waitcnt lgkmcnt(0)
	s_barrier
	v_mul_f32_e32 v48, v5, v27
	v_mul_f32_e32 v5, v5, v26
	v_fmac_f32_e32 v48, v4, v26
	v_fma_f32 v26, v4, v27, -v5
	v_mul_f32_e32 v5, v7, v29
	v_mul_f32_e32 v4, v7, v28
	;; [unrolled: 1-line block ×3, first 2 shown]
	v_fmac_f32_e32 v5, v6, v28
	v_fmac_f32_e32 v7, v0, v30
	v_mul_f32_e32 v1, v1, v30
	v_fma_f32 v27, v6, v29, -v4
	v_fma_f32 v28, v0, v31, -v1
	v_mul_f32_e32 v29, v3, v21
	v_mul_f32_e32 v0, v3, v20
	v_add_f32_e32 v1, v5, v7
	v_fmac_f32_e32 v29, v2, v20
	v_fma_f32 v30, v2, v21, -v0
	v_fma_f32 v20, -0.5, v1, v24
	v_sub_f32_e32 v1, v26, v30
	v_mov_b32_e32 v2, v20
	v_fmac_f32_e32 v2, 0xbf737871, v1
	v_sub_f32_e32 v3, v27, v28
	v_sub_f32_e32 v4, v48, v5
	;; [unrolled: 1-line block ×3, first 2 shown]
	v_fmac_f32_e32 v20, 0x3f737871, v1
	v_fmac_f32_e32 v2, 0xbf167918, v3
	v_add_f32_e32 v4, v4, v6
	v_fmac_f32_e32 v20, 0x3f167918, v3
	v_fmac_f32_e32 v2, 0x3e9e377a, v4
	;; [unrolled: 1-line block ×3, first 2 shown]
	v_add_f32_e32 v4, v48, v29
	v_fma_f32 v6, -0.5, v4, v24
	v_mov_b32_e32 v4, v6
	v_add_f32_e32 v0, v24, v48
	v_fmac_f32_e32 v4, 0x3f737871, v3
	v_sub_f32_e32 v21, v5, v48
	v_sub_f32_e32 v24, v7, v29
	v_fmac_f32_e32 v6, 0xbf737871, v3
	v_fmac_f32_e32 v4, 0xbf167918, v1
	v_add_f32_e32 v21, v21, v24
	v_fmac_f32_e32 v6, 0x3f167918, v1
	v_add_f32_e32 v3, v27, v28
	v_add_f32_e32 v0, v0, v5
	v_fmac_f32_e32 v4, 0x3e9e377a, v21
	v_fmac_f32_e32 v6, 0x3e9e377a, v21
	v_fma_f32 v21, -0.5, v3, v25
	v_add_f32_e32 v0, v0, v7
	v_sub_f32_e32 v24, v48, v29
	v_mov_b32_e32 v3, v21
	v_add_f32_e32 v0, v0, v29
	v_fmac_f32_e32 v3, 0x3f737871, v24
	v_sub_f32_e32 v29, v5, v7
	v_sub_f32_e32 v5, v26, v27
	;; [unrolled: 1-line block ×3, first 2 shown]
	v_fmac_f32_e32 v21, 0xbf737871, v24
	v_fmac_f32_e32 v3, 0x3f167918, v29
	v_add_f32_e32 v5, v5, v7
	v_fmac_f32_e32 v21, 0xbf167918, v29
	v_fmac_f32_e32 v3, 0x3e9e377a, v5
	;; [unrolled: 1-line block ×3, first 2 shown]
	v_add_f32_e32 v5, v26, v30
	v_fma_f32 v7, -0.5, v5, v25
	v_add_f32_e32 v1, v25, v26
	v_mov_b32_e32 v5, v7
	v_add_f32_e32 v1, v1, v27
	v_fmac_f32_e32 v5, 0xbf737871, v29
	v_sub_f32_e32 v25, v27, v26
	v_sub_f32_e32 v26, v28, v30
	v_fmac_f32_e32 v7, 0x3f737871, v29
	v_add_f32_e32 v1, v1, v28
	v_fmac_f32_e32 v5, 0x3f167918, v24
	v_add_f32_e32 v25, v25, v26
	;; [unrolled: 2-line block ×3, first 2 shown]
	v_fmac_f32_e32 v5, 0x3e9e377a, v25
	v_fmac_f32_e32 v7, 0x3e9e377a, v25
	ds_write2_b64 v52, v[0:1], v[2:3] offset1:2
	ds_write2_b64 v52, v[4:5], v[6:7] offset0:4 offset1:6
	ds_write_b64 v52, v[20:21] offset:64
	s_waitcnt lgkmcnt(0)
	s_barrier
	s_and_saveexec_b64 s[2:3], s[0:1]
	s_cbranch_execz .LBB0_19
; %bb.18:
	ds_read2_b64 v[0:3], v45 offset1:10
	ds_read2_b64 v[4:7], v45 offset0:20 offset1:30
	ds_read2_b64 v[20:23], v45 offset0:40 offset1:50
	ds_read_b64 v[43:44], v45 offset:480
.LBB0_19:
	s_or_b64 exec, exec, s[2:3]
	s_and_saveexec_b64 s[2:3], s[0:1]
	s_cbranch_execz .LBB0_21
; %bb.20:
	s_waitcnt lgkmcnt(3)
	v_mul_f32_e32 v24, v13, v3
	v_fmac_f32_e32 v24, v12, v2
	s_waitcnt lgkmcnt(0)
	v_mul_f32_e32 v25, v11, v44
	v_mul_f32_e32 v27, v19, v21
	v_mul_f32_e32 v28, v17, v7
	v_mul_f32_e32 v2, v13, v2
	v_fmac_f32_e32 v25, v10, v43
	v_fmac_f32_e32 v27, v18, v20
	;; [unrolled: 1-line block ×3, first 2 shown]
	v_mul_f32_e32 v31, v15, v5
	v_fma_f32 v2, v12, v3, -v2
	v_mul_f32_e32 v3, v17, v6
	v_fmac_f32_e32 v31, v14, v4
	v_mul_f32_e32 v48, v9, v23
	v_mul_f32_e32 v11, v11, v43
	v_fma_f32 v6, v16, v7, -v3
	v_mul_f32_e32 v3, v19, v20
	v_mul_f32_e32 v4, v15, v4
	v_add_f32_e32 v15, v25, v24
	v_add_f32_e32 v16, v28, v27
	v_fmac_f32_e32 v48, v8, v22
	v_fma_f32 v10, v10, v44, -v11
	v_fma_f32 v7, v18, v21, -v3
	v_sub_f32_e32 v17, v15, v16
	v_add_f32_e32 v11, v10, v2
	v_add_f32_e32 v3, v6, v7
	v_mul_f32_e32 v9, v9, v22
	v_mul_f32_e32 v17, 0x3f4a47b2, v17
	v_add_f32_e32 v18, v48, v31
	v_sub_f32_e32 v12, v11, v3
	v_fma_f32 v8, v8, v23, -v9
	v_fma_f32 v4, v14, v5, -v4
	v_sub_f32_e32 v19, v16, v18
	v_mov_b32_e32 v21, v17
	v_mul_f32_e32 v12, 0x3f4a47b2, v12
	v_add_f32_e32 v5, v8, v4
	v_mul_f32_e32 v20, 0x3d64c772, v19
	v_fmac_f32_e32 v21, 0x3d64c772, v19
	v_add_f32_e32 v19, v18, v15
	v_sub_f32_e32 v9, v3, v5
	v_mov_b32_e32 v14, v12
	v_add_f32_e32 v16, v16, v19
	v_sub_f32_e32 v10, v2, v10
	v_sub_f32_e32 v2, v7, v6
	;; [unrolled: 1-line block ×5, first 2 shown]
	v_mul_f32_e32 v13, 0x3d64c772, v9
	v_fmac_f32_e32 v14, 0x3d64c772, v9
	v_add_f32_e32 v9, v5, v11
	v_add_f32_e32 v0, v0, v16
	v_sub_f32_e32 v6, v10, v2
	v_sub_f32_e32 v7, v2, v4
	v_add_f32_e32 v2, v2, v4
	v_sub_f32_e32 v29, v27, v28
	v_add_f32_e32 v3, v3, v9
	v_mov_b32_e32 v19, v0
	v_mul_f32_e32 v8, 0x3f08b237, v7
	v_add_f32_e32 v22, v2, v10
	v_sub_f32_e32 v7, v49, v26
	v_sub_f32_e32 v10, v4, v10
	;; [unrolled: 1-line block ×4, first 2 shown]
	v_add_f32_e32 v1, v1, v3
	v_fmac_f32_e32 v19, 0xbf955555, v16
	v_mul_f32_e32 v23, 0xbf5ff5aa, v7
	s_mov_b32 s1, 0x3eae86e6
	v_mul_f32_e32 v4, 0xbf5ff5aa, v10
	v_mul_f32_e32 v50, 0x3f08b237, v50
	v_mov_b32_e32 v9, v1
	v_add_f32_e32 v16, v21, v19
	v_mov_b32_e32 v21, v8
	v_fma_f32 v23, v30, s1, -v23
	v_sub_f32_e32 v11, v5, v11
	s_mov_b32 s4, 0xbf3bfb3b
	v_sub_f32_e32 v15, v18, v15
	v_fma_f32 v18, v6, s1, -v4
	s_mov_b32 s1, 0x3f3bfb3b
	v_mov_b32_e32 v51, v50
	v_add_f32_e32 v29, v29, v49
	v_fmac_f32_e32 v9, 0xbf955555, v3
	v_fmac_f32_e32 v21, 0xbeae86e6, v6
	s_mov_b32 s0, 0xbf5ff5aa
	v_fma_f32 v5, v11, s4, -v12
	v_fma_f32 v6, v11, s1, -v13
	v_fmac_f32_e32 v51, 0xbeae86e6, v30
	v_add_f32_e32 v29, v29, v26
	v_add_f32_e32 v14, v14, v9
	;; [unrolled: 1-line block ×3, first 2 shown]
	v_fma_f32 v17, v15, s4, -v17
	v_add_f32_e32 v9, v6, v9
	v_fma_f32 v11, v7, s0, -v50
	v_fma_f32 v8, v10, s0, -v8
	;; [unrolled: 1-line block ×3, first 2 shown]
	v_fmac_f32_e32 v51, 0xbee1c552, v29
	v_fmac_f32_e32 v21, 0xbee1c552, v22
	;; [unrolled: 1-line block ×3, first 2 shown]
	v_add_f32_e32 v17, v17, v19
	v_fmac_f32_e32 v18, 0xbee1c552, v22
	v_fmac_f32_e32 v11, 0xbee1c552, v29
	;; [unrolled: 1-line block ×3, first 2 shown]
	v_add_f32_e32 v10, v6, v19
	v_add_f32_e32 v5, v23, v12
	v_sub_f32_e32 v7, v9, v11
	v_add_f32_e32 v6, v8, v10
	v_add_f32_e32 v9, v11, v9
	v_sub_f32_e32 v8, v10, v8
	v_sub_f32_e32 v11, v12, v23
	v_add_f32_e32 v10, v18, v17
	v_sub_f32_e32 v13, v14, v51
	v_add_f32_e32 v12, v21, v16
	ds_write_b64 v45, v[0:1]
	v_lshl_add_u32 v0, v46, 3, v47
	v_add_f32_e32 v3, v51, v14
	v_sub_f32_e32 v2, v16, v21
	v_sub_f32_e32 v4, v17, v18
	ds_write2_b64 v0, v[12:13], v[10:11] offset0:10 offset1:20
	ds_write2_b64 v0, v[8:9], v[6:7] offset0:30 offset1:40
	;; [unrolled: 1-line block ×3, first 2 shown]
.LBB0_21:
	s_or_b64 exec, exec, s[2:3]
	v_mad_u64_u32 v[8:9], s[0:1], s10, v34, 0
	s_waitcnt lgkmcnt(0)
	s_barrier
	ds_read2_b64 v[0:3], v45 offset1:14
	v_mov_b32_e32 v4, v9
	v_mad_u64_u32 v[4:5], s[0:1], s11, v34, v[4:5]
	s_mov_b32 s2, 0x1d41d41d
	s_waitcnt lgkmcnt(0)
	v_mul_f32_e32 v5, v42, v1
	v_fmac_f32_e32 v5, v41, v0
	v_cvt_f64_f32_e32 v[5:6], v5
	s_mov_b32 s3, 0x3f8d41d4
	v_mul_f32_e32 v0, v42, v0
	v_fma_f32 v0, v41, v1, -v0
	v_mul_f64 v[5:6], v[5:6], s[2:3]
	v_cvt_f64_f32_e32 v[0:1], v0
	v_mad_u64_u32 v[10:11], s[0:1], s8, v46, 0
	v_mov_b32_e32 v9, v4
	v_mul_f64 v[0:1], v[0:1], s[2:3]
	v_mov_b32_e32 v4, v11
	v_mov_b32_e32 v14, s7
	v_mad_u64_u32 v[11:12], s[0:1], s9, v46, v[4:5]
	v_cvt_f32_f64_e32 v12, v[5:6]
	ds_read2_b64 v[4:7], v45 offset0:35 offset1:49
	v_cvt_f32_f64_e32 v13, v[0:1]
	v_lshlrev_b64 v[0:1], 3, v[8:9]
	s_waitcnt lgkmcnt(0)
	v_mul_f32_e32 v8, v38, v5
	v_fmac_f32_e32 v8, v37, v4
	v_mul_f32_e32 v4, v38, v4
	v_fma_f32 v4, v37, v5, -v4
	v_cvt_f64_f32_e32 v[8:9], v8
	v_cvt_f64_f32_e32 v[4:5], v4
	v_add_co_u32_e64 v15, s[0:1], s6, v0
	v_addc_co_u32_e64 v14, s[0:1], v14, v1, s[0:1]
	v_mul_f64 v[0:1], v[8:9], s[2:3]
	v_mul_f64 v[4:5], v[4:5], s[2:3]
	v_lshlrev_b64 v[8:9], 3, v[10:11]
	v_add_co_u32_e64 v8, s[0:1], v15, v8
	v_addc_co_u32_e64 v9, s[0:1], v14, v9, s[0:1]
	v_cvt_f32_f64_e32 v0, v[0:1]
	v_cvt_f32_f64_e32 v1, v[4:5]
	v_mul_f32_e32 v4, v40, v3
	v_fmac_f32_e32 v4, v39, v2
	v_mul_f32_e32 v2, v40, v2
	v_fma_f32 v2, v39, v3, -v2
	v_cvt_f64_f32_e32 v[4:5], v4
	v_cvt_f64_f32_e32 v[2:3], v2
	s_mul_i32 s0, s9, 35
	s_mul_hi_u32 s1, s8, 35
	v_mul_f64 v[4:5], v[4:5], s[2:3]
	v_mul_f64 v[2:3], v[2:3], s[2:3]
	s_add_i32 s1, s1, s0
	s_mul_i32 s0, s8, 35
	s_lshl_b64 s[4:5], s[0:1], 3
	global_store_dwordx2 v[8:9], v[12:13], off
	v_mov_b32_e32 v10, s5
	v_add_co_u32_e64 v8, s[0:1], s4, v8
	v_addc_co_u32_e64 v9, s[0:1], v9, v10, s[0:1]
	global_store_dwordx2 v[8:9], v[0:1], off
	v_cvt_f32_f64_e32 v0, v[4:5]
	v_cvt_f32_f64_e32 v1, v[2:3]
	v_mul_f32_e32 v2, v36, v7
	v_mul_f32_e32 v4, v36, v6
	v_fmac_f32_e32 v2, v35, v6
	v_fma_f32 v4, v35, v7, -v4
	v_cvt_f64_f32_e32 v[2:3], v2
	v_cvt_f64_f32_e32 v[4:5], v4
	s_mul_hi_u32 s1, s8, 0xffffffeb
	s_mul_i32 s0, s9, 0xffffffeb
	v_mul_f64 v[2:3], v[2:3], s[2:3]
	v_mul_f64 v[4:5], v[4:5], s[2:3]
	s_sub_i32 s1, s1, s8
	s_add_i32 s1, s1, s0
	s_mul_i32 s0, s8, 0xffffffeb
	s_lshl_b64 s[6:7], s[0:1], 3
	v_mov_b32_e32 v7, s7
	v_add_co_u32_e64 v6, s[0:1], s6, v8
	v_cvt_f32_f64_e32 v2, v[2:3]
	v_cvt_f32_f64_e32 v3, v[4:5]
	v_addc_co_u32_e64 v7, s[0:1], v9, v7, s[0:1]
	global_store_dwordx2 v[6:7], v[0:1], off
	v_add_co_u32_e64 v0, s[0:1], s4, v6
	v_addc_co_u32_e64 v1, s[0:1], v7, v10, s[0:1]
	global_store_dwordx2 v[0:1], v[2:3], off
	s_and_b64 exec, exec, vcc
	s_cbranch_execz .LBB0_23
; %bb.22:
	global_load_dwordx2 v[6:7], v[32:33], off offset:224
	global_load_dwordx2 v[8:9], v[32:33], off offset:504
	ds_read2_b64 v[2:5], v45 offset0:28 offset1:63
	v_mov_b32_e32 v10, s7
	v_add_co_u32_e32 v0, vcc, s6, v0
	v_addc_co_u32_e32 v1, vcc, v1, v10, vcc
	v_mov_b32_e32 v11, s5
	s_waitcnt vmcnt(1) lgkmcnt(0)
	v_mul_f32_e32 v12, v3, v7
	v_mul_f32_e32 v7, v2, v7
	s_waitcnt vmcnt(0)
	v_mul_f32_e32 v13, v5, v9
	v_mul_f32_e32 v9, v4, v9
	v_fmac_f32_e32 v12, v2, v6
	v_fma_f32 v6, v6, v3, -v7
	v_fmac_f32_e32 v13, v4, v8
	v_fma_f32 v8, v8, v5, -v9
	v_cvt_f64_f32_e32 v[2:3], v12
	v_cvt_f64_f32_e32 v[4:5], v6
	;; [unrolled: 1-line block ×4, first 2 shown]
	v_mul_f64 v[2:3], v[2:3], s[2:3]
	v_mul_f64 v[4:5], v[4:5], s[2:3]
	;; [unrolled: 1-line block ×4, first 2 shown]
	v_cvt_f32_f64_e32 v2, v[2:3]
	v_cvt_f32_f64_e32 v3, v[4:5]
	;; [unrolled: 1-line block ×4, first 2 shown]
	v_add_co_u32_e32 v6, vcc, s4, v0
	v_addc_co_u32_e32 v7, vcc, v1, v11, vcc
	global_store_dwordx2 v[0:1], v[2:3], off
	global_store_dwordx2 v[6:7], v[4:5], off
.LBB0_23:
	s_endpgm
	.section	.rodata,"a",@progbits
	.p2align	6, 0x0
	.amdhsa_kernel bluestein_single_fwd_len70_dim1_sp_op_CI_CI
		.amdhsa_group_segment_fixed_size 10080
		.amdhsa_private_segment_fixed_size 0
		.amdhsa_kernarg_size 104
		.amdhsa_user_sgpr_count 6
		.amdhsa_user_sgpr_private_segment_buffer 1
		.amdhsa_user_sgpr_dispatch_ptr 0
		.amdhsa_user_sgpr_queue_ptr 0
		.amdhsa_user_sgpr_kernarg_segment_ptr 1
		.amdhsa_user_sgpr_dispatch_id 0
		.amdhsa_user_sgpr_flat_scratch_init 0
		.amdhsa_user_sgpr_private_segment_size 0
		.amdhsa_uses_dynamic_stack 0
		.amdhsa_system_sgpr_private_segment_wavefront_offset 0
		.amdhsa_system_sgpr_workgroup_id_x 1
		.amdhsa_system_sgpr_workgroup_id_y 0
		.amdhsa_system_sgpr_workgroup_id_z 0
		.amdhsa_system_sgpr_workgroup_info 0
		.amdhsa_system_vgpr_workitem_id 0
		.amdhsa_next_free_vgpr 66
		.amdhsa_next_free_sgpr 16
		.amdhsa_reserve_vcc 1
		.amdhsa_reserve_flat_scratch 0
		.amdhsa_float_round_mode_32 0
		.amdhsa_float_round_mode_16_64 0
		.amdhsa_float_denorm_mode_32 3
		.amdhsa_float_denorm_mode_16_64 3
		.amdhsa_dx10_clamp 1
		.amdhsa_ieee_mode 1
		.amdhsa_fp16_overflow 0
		.amdhsa_exception_fp_ieee_invalid_op 0
		.amdhsa_exception_fp_denorm_src 0
		.amdhsa_exception_fp_ieee_div_zero 0
		.amdhsa_exception_fp_ieee_overflow 0
		.amdhsa_exception_fp_ieee_underflow 0
		.amdhsa_exception_fp_ieee_inexact 0
		.amdhsa_exception_int_div_zero 0
	.end_amdhsa_kernel
	.text
.Lfunc_end0:
	.size	bluestein_single_fwd_len70_dim1_sp_op_CI_CI, .Lfunc_end0-bluestein_single_fwd_len70_dim1_sp_op_CI_CI
                                        ; -- End function
	.section	.AMDGPU.csdata,"",@progbits
; Kernel info:
; codeLenInByte = 4548
; NumSgprs: 20
; NumVgprs: 66
; ScratchSize: 0
; MemoryBound: 0
; FloatMode: 240
; IeeeMode: 1
; LDSByteSize: 10080 bytes/workgroup (compile time only)
; SGPRBlocks: 2
; VGPRBlocks: 16
; NumSGPRsForWavesPerEU: 20
; NumVGPRsForWavesPerEU: 66
; Occupancy: 3
; WaveLimiterHint : 1
; COMPUTE_PGM_RSRC2:SCRATCH_EN: 0
; COMPUTE_PGM_RSRC2:USER_SGPR: 6
; COMPUTE_PGM_RSRC2:TRAP_HANDLER: 0
; COMPUTE_PGM_RSRC2:TGID_X_EN: 1
; COMPUTE_PGM_RSRC2:TGID_Y_EN: 0
; COMPUTE_PGM_RSRC2:TGID_Z_EN: 0
; COMPUTE_PGM_RSRC2:TIDIG_COMP_CNT: 0
	.type	__hip_cuid_ea403bfbbdb6c33f,@object ; @__hip_cuid_ea403bfbbdb6c33f
	.section	.bss,"aw",@nobits
	.globl	__hip_cuid_ea403bfbbdb6c33f
__hip_cuid_ea403bfbbdb6c33f:
	.byte	0                               ; 0x0
	.size	__hip_cuid_ea403bfbbdb6c33f, 1

	.ident	"AMD clang version 19.0.0git (https://github.com/RadeonOpenCompute/llvm-project roc-6.4.0 25133 c7fe45cf4b819c5991fe208aaa96edf142730f1d)"
	.section	".note.GNU-stack","",@progbits
	.addrsig
	.addrsig_sym __hip_cuid_ea403bfbbdb6c33f
	.amdgpu_metadata
---
amdhsa.kernels:
  - .args:
      - .actual_access:  read_only
        .address_space:  global
        .offset:         0
        .size:           8
        .value_kind:     global_buffer
      - .actual_access:  read_only
        .address_space:  global
        .offset:         8
        .size:           8
        .value_kind:     global_buffer
      - .actual_access:  read_only
        .address_space:  global
        .offset:         16
        .size:           8
        .value_kind:     global_buffer
      - .actual_access:  read_only
        .address_space:  global
        .offset:         24
        .size:           8
        .value_kind:     global_buffer
      - .actual_access:  read_only
        .address_space:  global
        .offset:         32
        .size:           8
        .value_kind:     global_buffer
      - .offset:         40
        .size:           8
        .value_kind:     by_value
      - .address_space:  global
        .offset:         48
        .size:           8
        .value_kind:     global_buffer
      - .address_space:  global
        .offset:         56
        .size:           8
        .value_kind:     global_buffer
      - .address_space:  global
        .offset:         64
        .size:           8
        .value_kind:     global_buffer
      - .address_space:  global
        .offset:         72
        .size:           8
        .value_kind:     global_buffer
      - .offset:         80
        .size:           4
        .value_kind:     by_value
      - .address_space:  global
        .offset:         88
        .size:           8
        .value_kind:     global_buffer
      - .address_space:  global
        .offset:         96
        .size:           8
        .value_kind:     global_buffer
    .group_segment_fixed_size: 10080
    .kernarg_segment_align: 8
    .kernarg_segment_size: 104
    .language:       OpenCL C
    .language_version:
      - 2
      - 0
    .max_flat_workgroup_size: 252
    .name:           bluestein_single_fwd_len70_dim1_sp_op_CI_CI
    .private_segment_fixed_size: 0
    .sgpr_count:     20
    .sgpr_spill_count: 0
    .symbol:         bluestein_single_fwd_len70_dim1_sp_op_CI_CI.kd
    .uniform_work_group_size: 1
    .uses_dynamic_stack: false
    .vgpr_count:     66
    .vgpr_spill_count: 0
    .wavefront_size: 64
amdhsa.target:   amdgcn-amd-amdhsa--gfx906
amdhsa.version:
  - 1
  - 2
...

	.end_amdgpu_metadata
